;; amdgpu-corpus repo=ROCm/rocFFT kind=compiled arch=gfx1030 opt=O3
	.text
	.amdgcn_target "amdgcn-amd-amdhsa--gfx1030"
	.amdhsa_code_object_version 6
	.protected	fft_rtc_fwd_len585_factors_13_5_9_wgs_195_tpt_65_half_op_CI_CI_sbrr_dirReg ; -- Begin function fft_rtc_fwd_len585_factors_13_5_9_wgs_195_tpt_65_half_op_CI_CI_sbrr_dirReg
	.globl	fft_rtc_fwd_len585_factors_13_5_9_wgs_195_tpt_65_half_op_CI_CI_sbrr_dirReg
	.p2align	8
	.type	fft_rtc_fwd_len585_factors_13_5_9_wgs_195_tpt_65_half_op_CI_CI_sbrr_dirReg,@function
fft_rtc_fwd_len585_factors_13_5_9_wgs_195_tpt_65_half_op_CI_CI_sbrr_dirReg: ; @fft_rtc_fwd_len585_factors_13_5_9_wgs_195_tpt_65_half_op_CI_CI_sbrr_dirReg
; %bb.0:
	s_clause 0x1
	s_load_dwordx4 s[16:19], s[4:5], 0x18
	s_load_dwordx4 s[12:15], s[4:5], 0x0
	v_mul_u32_u24_e32 v1, 0x3f1, v0
	v_mov_b32_e32 v9, 0
	v_mov_b32_e32 v7, 0
	v_mov_b32_e32 v8, 0
	s_load_dwordx4 s[8:11], s[4:5], 0x58
	s_waitcnt lgkmcnt(0)
	s_load_dwordx2 s[20:21], s[16:17], 0x0
	s_load_dwordx2 s[2:3], s[18:19], 0x0
	v_lshrrev_b32_e32 v1, 16, v1
	v_cmp_lt_u64_e64 s0, s[14:15], 2
	v_mad_u64_u32 v[5:6], null, s6, 3, v[1:2]
	v_mov_b32_e32 v6, v9
	v_mov_b32_e32 v1, v7
	;; [unrolled: 1-line block ×3, first 2 shown]
	s_and_b32 vcc_lo, exec_lo, s0
	v_mov_b32_e32 v3, v5
	v_mov_b32_e32 v4, v6
	s_cbranch_vccnz .LBB0_8
; %bb.1:
	s_load_dwordx2 s[0:1], s[4:5], 0x10
	v_mov_b32_e32 v7, 0
	v_mov_b32_e32 v8, 0
	s_add_u32 s6, s18, 8
	v_mov_b32_e32 v12, v6
	s_addc_u32 s7, s19, 0
	v_mov_b32_e32 v1, v7
	v_mov_b32_e32 v11, v5
	s_add_u32 s22, s16, 8
	v_mov_b32_e32 v2, v8
	s_addc_u32 s23, s17, 0
	s_mov_b64 s[26:27], 1
	s_waitcnt lgkmcnt(0)
	s_add_u32 s24, s0, 8
	s_addc_u32 s25, s1, 0
.LBB0_2:                                ; =>This Inner Loop Header: Depth=1
	s_load_dwordx2 s[28:29], s[24:25], 0x0
                                        ; implicit-def: $vgpr3_vgpr4
	s_mov_b32 s0, exec_lo
	s_waitcnt lgkmcnt(0)
	v_or_b32_e32 v10, s29, v12
	v_cmpx_ne_u64_e32 0, v[9:10]
	s_xor_b32 s1, exec_lo, s0
	s_cbranch_execz .LBB0_4
; %bb.3:                                ;   in Loop: Header=BB0_2 Depth=1
	v_cvt_f32_u32_e32 v3, s28
	v_cvt_f32_u32_e32 v4, s29
	s_sub_u32 s0, 0, s28
	s_subb_u32 s30, 0, s29
	v_fmac_f32_e32 v3, 0x4f800000, v4
	v_rcp_f32_e32 v3, v3
	v_mul_f32_e32 v3, 0x5f7ffffc, v3
	v_mul_f32_e32 v4, 0x2f800000, v3
	v_trunc_f32_e32 v4, v4
	v_fmac_f32_e32 v3, 0xcf800000, v4
	v_cvt_u32_f32_e32 v4, v4
	v_cvt_u32_f32_e32 v3, v3
	v_mul_lo_u32 v6, s0, v4
	v_mul_hi_u32 v10, s0, v3
	v_mul_lo_u32 v13, s30, v3
	v_add_nc_u32_e32 v6, v10, v6
	v_mul_lo_u32 v10, s0, v3
	v_add_nc_u32_e32 v6, v6, v13
	v_mul_hi_u32 v13, v3, v10
	v_mul_lo_u32 v14, v3, v6
	v_mul_hi_u32 v15, v3, v6
	v_mul_hi_u32 v16, v4, v10
	v_mul_lo_u32 v10, v4, v10
	v_mul_hi_u32 v17, v4, v6
	v_mul_lo_u32 v6, v4, v6
	v_add_co_u32 v13, vcc_lo, v13, v14
	v_add_co_ci_u32_e32 v14, vcc_lo, 0, v15, vcc_lo
	v_add_co_u32 v10, vcc_lo, v13, v10
	v_add_co_ci_u32_e32 v10, vcc_lo, v14, v16, vcc_lo
	v_add_co_ci_u32_e32 v13, vcc_lo, 0, v17, vcc_lo
	v_add_co_u32 v6, vcc_lo, v10, v6
	v_add_co_ci_u32_e32 v10, vcc_lo, 0, v13, vcc_lo
	v_add_co_u32 v3, vcc_lo, v3, v6
	v_add_co_ci_u32_e32 v4, vcc_lo, v4, v10, vcc_lo
	v_mul_hi_u32 v6, s0, v3
	v_mul_lo_u32 v13, s30, v3
	v_mul_lo_u32 v10, s0, v4
	v_add_nc_u32_e32 v6, v6, v10
	v_mul_lo_u32 v10, s0, v3
	v_add_nc_u32_e32 v6, v6, v13
	v_mul_hi_u32 v13, v3, v10
	v_mul_lo_u32 v14, v3, v6
	v_mul_hi_u32 v15, v3, v6
	v_mul_hi_u32 v16, v4, v10
	v_mul_lo_u32 v10, v4, v10
	v_mul_hi_u32 v17, v4, v6
	v_mul_lo_u32 v6, v4, v6
	v_add_co_u32 v13, vcc_lo, v13, v14
	v_add_co_ci_u32_e32 v14, vcc_lo, 0, v15, vcc_lo
	v_add_co_u32 v10, vcc_lo, v13, v10
	v_add_co_ci_u32_e32 v10, vcc_lo, v14, v16, vcc_lo
	v_add_co_ci_u32_e32 v13, vcc_lo, 0, v17, vcc_lo
	v_add_co_u32 v6, vcc_lo, v10, v6
	v_add_co_ci_u32_e32 v10, vcc_lo, 0, v13, vcc_lo
	v_add_co_u32 v6, vcc_lo, v3, v6
	v_add_co_ci_u32_e32 v10, vcc_lo, v4, v10, vcc_lo
	v_mul_hi_u32 v17, v11, v6
	v_mad_u64_u32 v[13:14], null, v12, v6, 0
	v_mad_u64_u32 v[3:4], null, v11, v10, 0
	v_mad_u64_u32 v[15:16], null, v12, v10, 0
	v_add_co_u32 v3, vcc_lo, v17, v3
	v_add_co_ci_u32_e32 v4, vcc_lo, 0, v4, vcc_lo
	v_add_co_u32 v3, vcc_lo, v3, v13
	v_add_co_ci_u32_e32 v3, vcc_lo, v4, v14, vcc_lo
	v_add_co_ci_u32_e32 v4, vcc_lo, 0, v16, vcc_lo
	v_add_co_u32 v6, vcc_lo, v3, v15
	v_add_co_ci_u32_e32 v10, vcc_lo, 0, v4, vcc_lo
	v_mul_lo_u32 v13, s29, v6
	v_mad_u64_u32 v[3:4], null, s28, v6, 0
	v_mul_lo_u32 v14, s28, v10
	v_sub_co_u32 v3, vcc_lo, v11, v3
	v_add3_u32 v4, v4, v14, v13
	v_sub_nc_u32_e32 v13, v12, v4
	v_subrev_co_ci_u32_e64 v13, s0, s29, v13, vcc_lo
	v_add_co_u32 v14, s0, v6, 2
	v_add_co_ci_u32_e64 v15, s0, 0, v10, s0
	v_sub_co_u32 v16, s0, v3, s28
	v_sub_co_ci_u32_e32 v4, vcc_lo, v12, v4, vcc_lo
	v_subrev_co_ci_u32_e64 v13, s0, 0, v13, s0
	v_cmp_le_u32_e32 vcc_lo, s28, v16
	v_cmp_eq_u32_e64 s0, s29, v4
	v_cndmask_b32_e64 v16, 0, -1, vcc_lo
	v_cmp_le_u32_e32 vcc_lo, s29, v13
	v_cndmask_b32_e64 v17, 0, -1, vcc_lo
	v_cmp_le_u32_e32 vcc_lo, s28, v3
	;; [unrolled: 2-line block ×3, first 2 shown]
	v_cndmask_b32_e64 v18, 0, -1, vcc_lo
	v_cmp_eq_u32_e32 vcc_lo, s29, v13
	v_cndmask_b32_e64 v3, v18, v3, s0
	v_cndmask_b32_e32 v13, v17, v16, vcc_lo
	v_add_co_u32 v16, vcc_lo, v6, 1
	v_add_co_ci_u32_e32 v17, vcc_lo, 0, v10, vcc_lo
	v_cmp_ne_u32_e32 vcc_lo, 0, v13
	v_cndmask_b32_e32 v4, v17, v15, vcc_lo
	v_cndmask_b32_e32 v13, v16, v14, vcc_lo
	v_cmp_ne_u32_e32 vcc_lo, 0, v3
	v_cndmask_b32_e32 v4, v10, v4, vcc_lo
	v_cndmask_b32_e32 v3, v6, v13, vcc_lo
.LBB0_4:                                ;   in Loop: Header=BB0_2 Depth=1
	s_andn2_saveexec_b32 s0, s1
	s_cbranch_execz .LBB0_6
; %bb.5:                                ;   in Loop: Header=BB0_2 Depth=1
	v_cvt_f32_u32_e32 v3, s28
	s_sub_i32 s1, 0, s28
	v_rcp_iflag_f32_e32 v3, v3
	v_mul_f32_e32 v3, 0x4f7ffffe, v3
	v_cvt_u32_f32_e32 v3, v3
	v_mul_lo_u32 v4, s1, v3
	v_mul_hi_u32 v4, v3, v4
	v_add_nc_u32_e32 v3, v3, v4
	v_mul_hi_u32 v3, v11, v3
	v_mul_lo_u32 v4, v3, s28
	v_add_nc_u32_e32 v6, 1, v3
	v_sub_nc_u32_e32 v4, v11, v4
	v_subrev_nc_u32_e32 v10, s28, v4
	v_cmp_le_u32_e32 vcc_lo, s28, v4
	v_cndmask_b32_e32 v4, v4, v10, vcc_lo
	v_cndmask_b32_e32 v3, v3, v6, vcc_lo
	v_cmp_le_u32_e32 vcc_lo, s28, v4
	v_add_nc_u32_e32 v6, 1, v3
	v_mov_b32_e32 v4, v9
	v_cndmask_b32_e32 v3, v3, v6, vcc_lo
.LBB0_6:                                ;   in Loop: Header=BB0_2 Depth=1
	s_or_b32 exec_lo, exec_lo, s0
	v_mul_lo_u32 v6, v4, s28
	v_mul_lo_u32 v10, v3, s29
	s_load_dwordx2 s[0:1], s[22:23], 0x0
	v_mad_u64_u32 v[13:14], null, v3, s28, 0
	s_load_dwordx2 s[28:29], s[6:7], 0x0
	s_add_u32 s26, s26, 1
	s_addc_u32 s27, s27, 0
	s_add_u32 s6, s6, 8
	s_addc_u32 s7, s7, 0
	s_add_u32 s22, s22, 8
	v_add3_u32 v6, v14, v10, v6
	v_sub_co_u32 v10, vcc_lo, v11, v13
	s_addc_u32 s23, s23, 0
	s_add_u32 s24, s24, 8
	v_sub_co_ci_u32_e32 v6, vcc_lo, v12, v6, vcc_lo
	s_addc_u32 s25, s25, 0
	s_waitcnt lgkmcnt(0)
	v_mul_lo_u32 v11, s0, v6
	v_mul_lo_u32 v12, s1, v10
	v_mad_u64_u32 v[7:8], null, s0, v10, v[7:8]
	v_mul_lo_u32 v6, s28, v6
	v_mul_lo_u32 v13, s29, v10
	v_mad_u64_u32 v[1:2], null, s28, v10, v[1:2]
	v_cmp_ge_u64_e64 s0, s[26:27], s[14:15]
	v_add3_u32 v8, v12, v8, v11
	v_add3_u32 v2, v13, v2, v6
	s_and_b32 vcc_lo, exec_lo, s0
	s_cbranch_vccnz .LBB0_8
; %bb.7:                                ;   in Loop: Header=BB0_2 Depth=1
	v_mov_b32_e32 v12, v4
	v_mov_b32_e32 v11, v3
	s_branch .LBB0_2
.LBB0_8:
	s_load_dwordx2 s[0:1], s[4:5], 0x28
	s_lshl_b64 s[6:7], s[14:15], 3
	v_mul_hi_u32 v6, 0x3f03f04, v0
	s_add_u32 s4, s18, s6
	s_addc_u32 s5, s19, s7
	v_mov_b32_e32 v11, 0
	s_load_dwordx2 s[4:5], s[4:5], 0x0
                                        ; implicit-def: $vgpr22
                                        ; implicit-def: $vgpr21
                                        ; implicit-def: $vgpr23
                                        ; implicit-def: $vgpr20
                                        ; implicit-def: $vgpr27
                                        ; implicit-def: $vgpr9
                                        ; implicit-def: $vgpr26
                                        ; implicit-def: $vgpr10
                                        ; implicit-def: $vgpr25
                                        ; implicit-def: $vgpr12
                                        ; implicit-def: $vgpr24
                                        ; implicit-def: $vgpr19
	v_mul_u32_u24_e32 v6, 0x41, v6
	v_sub_nc_u32_e32 v13, v0, v6
	v_mov_b32_e32 v0, 0
	s_waitcnt lgkmcnt(0)
	v_cmp_gt_u64_e32 vcc_lo, s[0:1], v[3:4]
	s_and_saveexec_b32 s1, vcc_lo
	s_cbranch_execz .LBB0_12
; %bb.9:
	v_mov_b32_e32 v11, 0
	s_mov_b32 s14, exec_lo
                                        ; implicit-def: $vgpr19
                                        ; implicit-def: $vgpr24
                                        ; implicit-def: $vgpr12
                                        ; implicit-def: $vgpr25
                                        ; implicit-def: $vgpr10
                                        ; implicit-def: $vgpr26
                                        ; implicit-def: $vgpr9
                                        ; implicit-def: $vgpr27
                                        ; implicit-def: $vgpr20
                                        ; implicit-def: $vgpr23
                                        ; implicit-def: $vgpr21
                                        ; implicit-def: $vgpr22
	v_cmpx_gt_u32_e32 45, v13
	s_cbranch_execz .LBB0_11
; %bb.10:
	s_add_u32 s6, s16, s6
	s_addc_u32 s7, s17, s7
	v_mad_u64_u32 v[9:10], null, s20, v13, 0
	s_load_dwordx2 s[6:7], s[6:7], 0x0
	v_add_nc_u32_e32 v23, 45, v13
	v_add_nc_u32_e32 v25, 0x5a, v13
	;; [unrolled: 1-line block ×3, first 2 shown]
	v_lshlrev_b64 v[6:7], 2, v[7:8]
	v_add_nc_u32_e32 v27, 0xb4, v13
	v_mad_u64_u32 v[11:12], null, s20, v23, 0
	v_mov_b32_e32 v0, v10
	v_mad_u64_u32 v[14:15], null, s20, v25, 0
	v_mad_u64_u32 v[16:17], null, s20, v26, 0
	;; [unrolled: 1-line block ×3, first 2 shown]
	v_mov_b32_e32 v0, v12
	v_mad_u64_u32 v[21:22], null, s20, v27, 0
	v_mov_b32_e32 v8, v15
	v_mov_b32_e32 v12, v17
	s_waitcnt lgkmcnt(0)
	v_mul_lo_u32 v10, s7, v3
	v_mul_lo_u32 v24, s6, v4
	v_mad_u64_u32 v[18:19], null, s6, v3, 0
	v_add_nc_u32_e32 v39, 0x1ef, v13
	v_add3_u32 v19, v19, v24, v10
	v_mad_u64_u32 v[23:24], null, s21, v23, v[0:1]
	v_mov_b32_e32 v10, v20
	v_mad_u64_u32 v[24:25], null, s21, v25, v[8:9]
	v_lshlrev_b64 v[17:18], 2, v[18:19]
	v_mad_u64_u32 v[19:20], null, s21, v26, v[12:13]
	v_lshlrev_b64 v[8:9], 2, v[9:10]
	v_mov_b32_e32 v12, v23
	v_add_nc_u32_e32 v26, 0x10e, v13
	v_add_co_u32 v0, s0, s8, v17
	v_add_co_ci_u32_e64 v10, s0, s9, v18, s0
	v_mov_b32_e32 v15, v24
	v_add_co_u32 v41, s0, v0, v6
	v_add_co_ci_u32_e64 v42, s0, v10, v7, s0
	v_lshlrev_b64 v[6:7], 2, v[11:12]
	v_add_nc_u32_e32 v12, 0xe1, v13
	v_lshlrev_b64 v[10:11], 2, v[14:15]
	v_mov_b32_e32 v0, v22
	v_add_co_u32 v8, s0, v41, v8
	v_mad_u64_u32 v[14:15], null, s20, v12, 0
	v_add_co_ci_u32_e64 v9, s0, v42, v9, s0
	v_add_co_u32 v6, s0, v41, v6
	v_mov_b32_e32 v17, v19
	v_mad_u64_u32 v[18:19], null, s21, v27, v[0:1]
	v_add_co_ci_u32_e64 v7, s0, v42, v7, s0
	v_add_co_u32 v19, s0, v41, v10
	v_mov_b32_e32 v0, v15
	v_add_co_ci_u32_e64 v20, s0, v42, v11, s0
	v_lshlrev_b64 v[10:11], 2, v[16:17]
	v_mad_u64_u32 v[16:17], null, s20, v26, 0
	v_mov_b32_e32 v22, v18
	v_mad_u64_u32 v[23:24], null, s21, v12, v[0:1]
	v_add_nc_u32_e32 v12, 0x13b, v13
	v_add_co_u32 v24, s0, v41, v10
	v_add_co_ci_u32_e64 v25, s0, v42, v11, s0
	v_lshlrev_b64 v[10:11], 2, v[21:22]
	v_mad_u64_u32 v[21:22], null, s20, v12, 0
	v_mov_b32_e32 v0, v17
	v_mov_b32_e32 v15, v23
	v_add_nc_u32_e32 v23, 0x1c2, v13
	v_add_co_u32 v28, s0, v41, v10
	v_mad_u64_u32 v[17:18], null, s21, v26, v[0:1]
	v_add_nc_u32_e32 v18, 0x168, v13
	v_mov_b32_e32 v0, v22
	v_add_co_ci_u32_e64 v29, s0, v42, v11, s0
	v_lshlrev_b64 v[10:11], 2, v[14:15]
	v_mad_u64_u32 v[26:27], null, s20, v18, 0
	v_mad_u64_u32 v[14:15], null, s21, v12, v[0:1]
	v_add_nc_u32_e32 v12, 0x195, v13
	v_add_co_u32 v30, s0, v41, v10
	v_add_co_ci_u32_e64 v31, s0, v42, v11, s0
	v_mov_b32_e32 v0, v27
	v_mov_b32_e32 v22, v14
	v_mad_u64_u32 v[14:15], null, s20, v12, 0
	v_lshlrev_b64 v[10:11], 2, v[16:17]
	v_mad_u64_u32 v[16:17], null, s21, v18, v[0:1]
	v_mad_u64_u32 v[17:18], null, s20, v23, 0
	v_mov_b32_e32 v0, v15
	v_add_co_u32 v32, s0, v41, v10
	v_mov_b32_e32 v27, v16
	v_add_co_ci_u32_e64 v33, s0, v42, v11, s0
	v_mad_u64_u32 v[15:16], null, s21, v12, v[0:1]
	v_mov_b32_e32 v0, v18
	v_lshlrev_b64 v[10:11], 2, v[21:22]
	v_add_nc_u32_e32 v12, 0x21c, v13
	v_mad_u64_u32 v[21:22], null, s20, v39, 0
	v_mad_u64_u32 v[34:35], null, s21, v23, v[0:1]
	;; [unrolled: 1-line block ×3, first 2 shown]
	v_add_co_u32 v37, s0, v41, v10
	v_mov_b32_e32 v0, v22
	v_add_co_ci_u32_e64 v38, s0, v42, v11, s0
	v_lshlrev_b64 v[10:11], 2, v[26:27]
	v_mov_b32_e32 v18, v34
	v_mad_u64_u32 v[22:23], null, s21, v39, v[0:1]
	v_mov_b32_e32 v0, v36
	v_add_co_u32 v39, s0, v41, v10
	v_add_co_ci_u32_e64 v40, s0, v42, v11, s0
	v_lshlrev_b64 v[10:11], 2, v[14:15]
	v_mad_u64_u32 v[14:15], null, s21, v12, v[0:1]
	v_lshlrev_b64 v[15:16], 2, v[17:18]
	v_add_co_u32 v17, s0, v41, v10
	v_add_co_ci_u32_e64 v18, s0, v42, v11, s0
	v_mov_b32_e32 v36, v14
	v_lshlrev_b64 v[10:11], 2, v[21:22]
	v_add_co_u32 v14, s0, v41, v15
	v_add_co_ci_u32_e64 v15, s0, v42, v16, s0
	v_lshlrev_b64 v[21:22], 2, v[35:36]
	v_add_co_u32 v34, s0, v41, v10
	v_add_co_ci_u32_e64 v35, s0, v42, v11, s0
	v_add_co_u32 v41, s0, v41, v21
	v_add_co_ci_u32_e64 v42, s0, v42, v22, s0
	s_clause 0xc
	global_load_dword v11, v[8:9], off
	global_load_dword v27, v[6:7], off
	;; [unrolled: 1-line block ×13, first 2 shown]
.LBB0_11:
	s_or_b32 exec_lo, exec_lo, s14
	v_mov_b32_e32 v0, v13
.LBB0_12:
	s_or_b32 exec_lo, exec_lo, s1
	v_mul_hi_u32 v6, 0xaaaaaaab, v5
	s_waitcnt vmcnt(0)
	v_pk_add_f16 v38, v27, v9 neg_lo:[0,1] neg_hi:[0,1]
	v_pk_add_f16 v32, v27, v9
	v_pk_add_f16 v37, v26, v10 neg_lo:[0,1] neg_hi:[0,1]
	v_pk_add_f16 v31, v26, v10
	v_pk_add_f16 v35, v25, v12 neg_lo:[0,1] neg_hi:[0,1]
	v_pk_mul_f16 v7, 0xb94ebb7b, v38
	v_pk_add_f16 v29, v25, v12
	v_lshrrev_b32_e32 v6, 1, v6
	v_pk_mul_f16 v8, 0x3bf1394e, v37
	v_pk_add_f16 v33, v24, v19 neg_lo:[0,1] neg_hi:[0,1]
	v_pk_fma_f16 v14, 0xb5acb9fd, v32, v7 op_sel:[0,0,1] op_sel_hi:[1,1,0] neg_lo:[0,0,1] neg_hi:[0,0,1]
	v_pk_fma_f16 v7, 0xb5acb9fd, v32, v7 op_sel:[0,0,1] op_sel_hi:[1,1,0]
	v_lshl_add_u32 v6, v6, 1, v6
	v_pk_fma_f16 v15, 0xb9fd2fb7, v31, v8 op_sel:[0,0,1] op_sel_hi:[1,1,0] neg_lo:[0,0,1] neg_hi:[0,0,1]
	v_pk_add_f16 v30, v24, v19
	v_pk_add_f16 v14, v11, v14
	v_pk_fma_f16 v8, 0xb9fd2fb7, v31, v8 op_sel:[0,0,1] op_sel_hi:[1,1,0]
	v_sub_nc_u32_e32 v5, v5, v6
	v_pk_mul_f16 v6, 0xba953770, v35
	v_pk_add_f16 v7, v11, v7
	v_pk_add_f16 v14, v14, v15
	v_pk_add_f16 v36, v23, v20 neg_lo:[0,1] neg_hi:[0,1]
	v_pk_mul_f16 v16, 0x33a8bbf1, v33
	v_pk_fma_f16 v15, 0x3b15388b, v29, v6 op_sel:[0,0,1] op_sel_hi:[1,1,0] neg_lo:[0,0,1] neg_hi:[0,0,1]
	v_pk_add_f16 v28, v23, v20
	v_pk_add_f16 v7, v7, v8
	v_pk_fma_f16 v6, 0x3b15388b, v29, v6 op_sel:[0,0,1] op_sel_hi:[1,1,0]
	v_pk_mul_f16 v18, 0xb9fdb5ac, v32
	v_pk_add_f16 v8, v14, v15
	v_pk_fma_f16 v14, 0x2fb7bbc4, v30, v16 op_sel:[0,0,1] op_sel_hi:[1,1,0] neg_lo:[0,0,1] neg_hi:[0,0,1]
	v_pk_mul_f16 v15, 0x377033a8, v36
	v_pk_add_f16 v6, v7, v6
	v_pk_fma_f16 v44, 0xbb7bb94e, v38, v18 op_sel:[0,0,1] op_sel_hi:[1,1,0] neg_lo:[0,1,0] neg_hi:[0,1,0]
	v_pk_add_f16 v34, v22, v21 neg_lo:[0,1] neg_hi:[0,1]
	v_pk_add_f16 v7, v8, v14
	v_pk_fma_f16 v8, 0x2fb7bbc4, v30, v16 op_sel:[0,0,1] op_sel_hi:[1,1,0]
	v_pk_fma_f16 v14, 0xbbc43b15, v28, v15 op_sel:[0,0,1] op_sel_hi:[1,1,0] neg_lo:[0,0,1] neg_hi:[0,0,1]
	v_pk_fma_f16 v16, 0xbb7bb94e, v38, v18 op_sel:[0,0,1] op_sel_hi:[1,1,0]
	v_pk_mul_f16 v18, 0x2fb7b9fd, v31
	v_mul_u32_u24_e32 v17, 0x249, v5
	v_pk_add_f16 v6, v6, v8
	v_pk_add_f16 v7, v14, v7
	v_pk_fma_f16 v8, 0xbbc43b15, v28, v15 op_sel:[0,0,1] op_sel_hi:[1,1,0]
	v_bfi_b32 v14, 0xffff, v44, v16
	v_pk_fma_f16 v15, 0x394e3bf1, v37, v18 op_sel:[0,0,1] op_sel_hi:[1,1,0]
	v_pk_fma_f16 v43, 0x394e3bf1, v37, v18 op_sel:[0,0,1] op_sel_hi:[1,1,0] neg_lo:[0,1,0] neg_hi:[0,1,0]
	v_pk_mul_f16 v18, 0x388b3b15, v29
	v_pk_add_f16 v5, v22, v21
	v_pk_add_f16 v6, v8, v6
	v_pk_mul_f16 v8, 0xbb7b3a95, v34
	v_pk_add_f16 v14, v11, v14 op_sel:[1,0] op_sel_hi:[0,1]
	v_bfi_b32 v39, 0xffff, v43, v15
	v_pk_fma_f16 v45, 0x3770ba95, v35, v18 op_sel:[0,0,1] op_sel_hi:[1,1,0]
	v_pk_fma_f16 v42, 0x3770ba95, v35, v18 op_sel:[0,0,1] op_sel_hi:[1,1,0] neg_lo:[0,1,0] neg_hi:[0,1,0]
	v_pk_mul_f16 v18, 0xbbc42fb7, v30
	v_pk_fma_f16 v40, 0x388bb5ac, v5, v8 op_sel:[0,0,1] op_sel_hi:[1,1,0] neg_lo:[0,0,1] neg_hi:[0,0,1]
	v_pk_fma_f16 v8, 0x388bb5ac, v5, v8 op_sel:[0,0,1] op_sel_hi:[1,1,0]
	v_pk_add_f16 v14, v14, v39
	v_bfi_b32 v39, 0xffff, v42, v45
	v_pk_fma_f16 v46, 0xbbf133a8, v33, v18 op_sel:[0,0,1] op_sel_hi:[1,1,0]
	v_pk_fma_f16 v41, 0xbbf133a8, v33, v18 op_sel:[0,0,1] op_sel_hi:[1,1,0] neg_lo:[0,1,0] neg_hi:[0,1,0]
	v_pk_mul_f16 v18, 0x3b15bbc4, v28
	v_pk_add_f16 v6, v8, v6
	v_pk_add_f16 v8, v14, v39
	;; [unrolled: 1-line block ×3, first 2 shown]
	v_bfi_b32 v14, 0xffff, v41, v46
	v_pk_fma_f16 v47, 0x33a83770, v36, v18 op_sel:[0,0,1] op_sel_hi:[1,1,0]
	v_pk_fma_f16 v40, 0x33a83770, v36, v18 op_sel:[0,0,1] op_sel_hi:[1,1,0] neg_lo:[0,1,0] neg_hi:[0,1,0]
	v_pk_mul_f16 v18, 0xb5ac388b, v5
	v_add_f16_sdwa v16, v11, v16 dst_sel:DWORD dst_unused:UNUSED_PAD src0_sel:WORD_1 src1_sel:DWORD
	v_pk_add_f16 v8, v8, v14
	v_pk_mul_f16 v14, 0xbbc4, v32 op_sel_hi:[0,1]
	v_bfi_b32 v48, 0xffff, v40, v47
	v_pk_fma_f16 v39, 0x3a95bb7b, v34, v18 op_sel:[0,0,1] op_sel_hi:[1,1,0] neg_lo:[0,1,0] neg_hi:[0,1,0]
	v_add_f16_e32 v15, v16, v15
	v_pk_fma_f16 v16, 0x3a95bb7b, v34, v18 op_sel:[0,0,1] op_sel_hi:[1,1,0]
	v_pk_fma_f16 v18, 0xb3a8, v38, v14 op_sel:[0,0,1] op_sel_hi:[0,1,0]
	v_pk_mul_f16 v49, 0x3b15, v31 op_sel_hi:[0,1]
	v_pk_add_f16 v8, v48, v8
	v_add_f16_e32 v15, v15, v45
	v_pk_mul_f16 v50, 0xb9fd, v29 op_sel_hi:[0,1]
	v_pk_add_f16 v18, v11, v18 op_sel:[1,0] op_sel_hi:[0,1]
	v_pk_fma_f16 v48, 0x3770, v37, v49 op_sel:[0,0,1] op_sel_hi:[0,1,0]
	v_pk_fma_f16 v14, 0xb3a8, v38, v14 op_sel:[0,0,1] op_sel_hi:[0,1,0] neg_lo:[0,1,0] neg_hi:[0,1,0]
	v_add_f16_e32 v15, v15, v46
	v_pk_fma_f16 v46, 0x3770, v37, v49 op_sel:[0,0,1] op_sel_hi:[0,1,0] neg_lo:[0,1,0] neg_hi:[0,1,0]
	v_pk_mul_f16 v49, 0x388b, v30 op_sel_hi:[0,1]
	v_pk_add_f16 v18, v18, v48
	v_pk_fma_f16 v48, 0xb94e, v35, v50 op_sel:[0,0,1] op_sel_hi:[0,1,0]
	v_add_f16_sdwa v51, v11, v14 dst_sel:DWORD dst_unused:UNUSED_PAD src0_sel:DWORD src1_sel:WORD_1
	v_add_f16_sdwa v14, v11, v14 dst_sel:DWORD dst_unused:UNUSED_PAD src0_sel:WORD_1 src1_sel:DWORD
	v_pk_fma_f16 v50, 0xb94e, v35, v50 op_sel:[0,0,1] op_sel_hi:[0,1,0] neg_lo:[0,1,0] neg_hi:[0,1,0]
	v_pk_mul_f16 v52, 0xb5ac, v28 op_sel_hi:[0,1]
	v_pk_add_f16 v18, v18, v48
	v_pk_fma_f16 v48, 0x3a95, v33, v49 op_sel:[0,0,1] op_sel_hi:[0,1,0]
	v_add_f16_sdwa v51, v51, v46 dst_sel:DWORD dst_unused:UNUSED_PAD src0_sel:DWORD src1_sel:WORD_1
	v_add_f16_e32 v14, v14, v46
	v_pk_fma_f16 v46, 0x3a95, v33, v49 op_sel:[0,0,1] op_sel_hi:[0,1,0] neg_lo:[0,1,0] neg_hi:[0,1,0]
	v_pk_fma_f16 v49, 0xbb7b, v36, v52 op_sel:[0,0,1] op_sel_hi:[0,1,0] neg_lo:[0,1,0] neg_hi:[0,1,0]
	v_pk_add_f16 v18, v18, v48
	v_add_f16_sdwa v48, v51, v50 dst_sel:DWORD dst_unused:UNUSED_PAD src0_sel:DWORD src1_sel:WORD_1
	v_add_f16_e32 v14, v14, v50
	v_pk_fma_f16 v50, 0xbb7b, v36, v52 op_sel:[0,0,1] op_sel_hi:[0,1,0]
	v_pk_mul_f16 v51, 0x2fb7, v5 op_sel_hi:[0,1]
	v_bfi_b32 v45, 0xffff, v39, v16
	v_add_f16_sdwa v48, v48, v46 dst_sel:DWORD dst_unused:UNUSED_PAD src0_sel:DWORD src1_sel:WORD_1
	v_add_f16_e32 v14, v14, v46
	v_add_f16_e32 v15, v47, v15
	v_pk_add_f16 v18, v50, v18
	v_pk_fma_f16 v46, 0x3bf1, v34, v51 op_sel:[0,0,1] op_sel_hi:[0,1,0] neg_lo:[0,1,0] neg_hi:[0,1,0]
	v_add_f16_sdwa v47, v49, v48 dst_sel:DWORD dst_unused:UNUSED_PAD src0_sel:WORD_1 src1_sel:DWORD
	v_pk_fma_f16 v48, 0x3bf1, v34, v51 op_sel:[0,0,1] op_sel_hi:[0,1,0]
	v_add_f16_e32 v49, v49, v14
	v_add_f16_e32 v14, v16, v15
	v_pk_add_f16 v16, v45, v8
	v_add_f16_sdwa v8, v46, v47 dst_sel:DWORD dst_unused:UNUSED_PAD src0_sel:WORD_1 src1_sel:DWORD
	v_pk_add_f16 v15, v48, v18
	v_add_f16_e32 v18, v46, v49
	v_lshlrev_b32_e32 v17, 2, v17
	s_mov_b32 s1, exec_lo
	v_cmpx_gt_u32_e32 45, v13
	s_cbranch_execz .LBB0_14
; %bb.13:
	v_mul_f16_e32 v45, 0xbbf1, v38
	v_lshrrev_b32_e32 v46, 16, v32
	v_add_f16_sdwa v44, v11, v44 dst_sel:DWORD dst_unused:UNUSED_PAD src0_sel:DWORD src1_sel:WORD_1
	v_mul_f16_e32 v47, 0xb3a8, v37
	v_lshrrev_b32_e32 v48, 16, v31
	v_mul_f16_e32 v50, 0x3b7b, v35
	v_fmamk_f16 v49, v46, 0x2fb7, v45
	v_lshrrev_b32_e32 v51, 16, v29
	v_add_f16_sdwa v43, v44, v43 dst_sel:DWORD dst_unused:UNUSED_PAD src0_sel:DWORD src1_sel:WORD_1
	v_fmamk_f16 v53, v48, 0xbbc4, v47
	v_mul_f16_e32 v44, 0x2fb7, v32
	v_add_f16_sdwa v49, v11, v49 dst_sel:DWORD dst_unused:UNUSED_PAD src0_sel:WORD_1 src1_sel:DWORD
	v_lshrrev_b32_e32 v56, 16, v38
	v_mul_f16_e32 v52, 0x3770, v33
	v_lshrrev_b32_e32 v54, 16, v30
	v_fmamk_f16 v57, v51, 0xb5ac, v50
	v_add_f16_e32 v49, v49, v53
	v_fmamk_f16 v59, v56, 0x3bf1, v44
	v_mul_f16_e32 v60, 0xbbc4, v31
	v_lshrrev_b32_e32 v61, 16, v37
	v_mul_f16_e32 v55, 0xba95, v36
	v_lshrrev_b32_e32 v53, 16, v28
	v_fmamk_f16 v62, v54, 0x3b15, v52
	v_add_f16_sdwa v42, v43, v42 dst_sel:DWORD dst_unused:UNUSED_PAD src0_sel:DWORD src1_sel:WORD_1
	v_add_f16_e32 v43, v49, v57
	v_add_f16_e32 v49, v11, v59
	v_fmamk_f16 v57, v61, 0x33a8, v60
	v_mul_f16_e32 v59, 0xb5ac, v29
	v_lshrrev_b32_e32 v63, 16, v35
	v_fmamk_f16 v64, v53, 0x388b, v55
	v_add_f16_sdwa v41, v42, v41 dst_sel:DWORD dst_unused:UNUSED_PAD src0_sel:DWORD src1_sel:WORD_1
	v_add_f16_e32 v42, v43, v62
	v_add_f16_e32 v43, v49, v57
	v_fmamk_f16 v49, v63, 0xbb7b, v59
	v_mul_f16_e32 v57, 0x3b15, v30
	v_lshrrev_b32_e32 v62, 16, v33
	v_add_f16_sdwa v40, v40, v41 dst_sel:DWORD dst_unused:UNUSED_PAD src0_sel:WORD_1 src1_sel:DWORD
	v_add_f16_e32 v41, v64, v42
	v_add_f16_e32 v42, v43, v49
	v_mul_f16_e32 v64, 0xba95, v38
	v_fmamk_f16 v43, v62, 0xb770, v57
	v_mul_f16_e32 v49, 0x388b, v28
	v_lshrrev_b32_e32 v66, 16, v36
	v_add_f16_sdwa v39, v39, v40 dst_sel:DWORD dst_unused:UNUSED_PAD src0_sel:WORD_1 src1_sel:DWORD
	v_mul_f16_e32 v58, 0xb94e, v34
	v_add_f16_e32 v40, v42, v43
	v_fmamk_f16 v42, v46, 0x388b, v64
	v_mul_f16_e32 v43, 0xbb7b, v37
	v_lshrrev_b32_e32 v65, 16, v5
	v_fmamk_f16 v68, v66, 0x3a95, v49
	v_mul_f16_e32 v72, 0xb3a8, v35
	v_add_f16_sdwa v42, v11, v42 dst_sel:DWORD dst_unused:UNUSED_PAD src0_sel:WORD_1 src1_sel:DWORD
	v_fmamk_f16 v71, v48, 0xb5ac, v43
	v_fmamk_f16 v67, v65, 0xb9fd, v58
	v_add_f16_e32 v40, v68, v40
	v_fmamk_f16 v68, v51, 0xbbc4, v72
	v_mul_f16_e32 v76, 0x3bf1, v36
	v_add_f16_e32 v42, v42, v71
	v_mul_f16_e32 v71, 0x394e, v33
	v_add_f16_e32 v41, v67, v41
	v_mul_f16_e32 v67, 0x388b, v32
	v_mul_f16_e32 v69, 0xb9fd, v5
	v_add_f16_e32 v42, v42, v68
	v_fmamk_f16 v68, v54, 0xb9fd, v71
	v_lshrrev_b32_e32 v70, 16, v34
	v_fmamk_f16 v74, v56, 0x3a95, v67
	v_mul_f16_e32 v75, 0xb5ac, v31
	v_fma_f16 v45, v46, 0x2fb7, -v45
	v_add_f16_e32 v42, v42, v68
	v_fmamk_f16 v68, v53, 0x2fb7, v76
	v_pk_add_f16 v27, v11, v27
	v_fmamk_f16 v73, v70, 0x394e, v69
	v_add_f16_e32 v74, v11, v74
	v_fmamk_f16 v77, v61, 0x3b7b, v75
	v_mul_f16_e32 v78, 0xbbc4, v29
	v_add_f16_e32 v42, v68, v42
	v_mul_f16_e32 v68, 0x3770, v34
	v_mul_f16_e32 v38, 0xb770, v38
	v_add_f16_sdwa v45, v11, v45 dst_sel:DWORD dst_unused:UNUSED_PAD src0_sel:WORD_1 src1_sel:DWORD
	v_fma_f16 v47, v48, 0xbbc4, -v47
	v_pk_add_f16 v26, v27, v26
	v_add_f16_e32 v40, v73, v40
	v_add_f16_e32 v73, v74, v77
	v_fmamk_f16 v74, v63, 0x33a8, v78
	v_mul_f16_e32 v77, 0xb9fd, v30
	v_fmamk_f16 v80, v65, 0x3b15, v68
	v_fmamk_f16 v81, v46, 0x3b15, v38
	v_mul_f16_e32 v37, 0xba95, v37
	v_add_f16_e32 v45, v45, v47
	v_fma_f16 v47, v51, 0xb5ac, -v50
	v_pk_add_f16 v25, v26, v25
	v_add_f16_e32 v73, v73, v74
	v_fmamk_f16 v74, v62, 0xb94e, v77
	v_mul_f16_e32 v79, 0x2fb7, v28
	v_add_f16_e32 v42, v80, v42
	v_add_f16_sdwa v80, v11, v81 dst_sel:DWORD dst_unused:UNUSED_PAD src0_sel:WORD_1 src1_sel:DWORD
	v_fmamk_f16 v81, v48, 0x388b, v37
	v_mul_f16_e32 v35, 0xbbf1, v35
	v_mul_f16_e32 v32, 0x3b15, v32
	v_fmac_f16_e32 v44, 0xbbf1, v56
	v_add_f16_e32 v45, v45, v47
	v_fma_f16 v47, v54, 0x3b15, -v52
	v_fma_f16 v64, v46, 0x388b, -v64
	v_pk_add_f16 v24, v25, v24
	v_add_f16_e32 v73, v73, v74
	v_fmamk_f16 v74, v66, 0xbbf1, v79
	v_add_f16_e32 v80, v80, v81
	v_fmamk_f16 v81, v51, 0x2fb7, v35
	v_mul_f16_e32 v33, 0xbb7b, v33
	v_fmamk_f16 v82, v56, 0x3770, v32
	v_mul_f16_e32 v31, 0x388b, v31
	v_add_f16_e32 v44, v11, v44
	v_fmac_f16_e32 v60, 0xb3a8, v61
	v_add_f16_e32 v45, v45, v47
	v_fma_f16 v47, v53, 0x388b, -v55
	v_add_f16_sdwa v55, v11, v64 dst_sel:DWORD dst_unused:UNUSED_PAD src0_sel:WORD_1 src1_sel:DWORD
	v_fma_f16 v43, v48, 0xb5ac, -v43
	v_pk_add_f16 v23, v24, v23
	v_add_f16_e32 v73, v74, v73
	v_mul_f16_e32 v74, 0x3b15, v5
	v_add_f16_e32 v80, v80, v81
	v_fmamk_f16 v81, v54, 0xb5ac, v33
	v_add_f16_e32 v82, v11, v82
	v_fmamk_f16 v84, v61, 0x3a95, v31
	v_mul_f16_e32 v29, 0x2fb7, v29
	v_add_f16_e32 v44, v44, v60
	v_fmac_f16_e32 v59, 0x3b7b, v63
	v_add_f16_e32 v45, v47, v45
	v_fma_f16 v47, v65, 0xb9fd, -v58
	v_add_f16_e32 v43, v55, v43
	v_fma_f16 v55, v51, 0xbbc4, -v72
	v_fmac_f16_e32 v67, 0xba95, v56
	v_fma_f16 v38, v46, 0x3b15, -v38
	v_fmac_f16_e32 v32, 0xb770, v56
	v_pk_add_f16 v22, v23, v22
	v_fmamk_f16 v83, v70, 0xb770, v74
	v_mul_f16_e32 v36, 0xb94e, v36
	v_add_f16_e32 v80, v80, v81
	v_add_f16_e32 v81, v82, v84
	v_fmamk_f16 v82, v63, 0x3bf1, v29
	v_mul_f16_e32 v30, 0xb5ac, v30
	v_add_f16_e32 v44, v44, v59
	v_fmac_f16_e32 v57, 0x3770, v62
	v_add_f16_e32 v45, v47, v45
	v_add_f16_e32 v43, v43, v55
	v_fma_f16 v47, v54, 0xb9fd, -v71
	v_add_f16_e32 v55, v11, v67
	v_fmac_f16_e32 v75, 0xbb7b, v61
	v_add_f16_sdwa v38, v11, v38 dst_sel:DWORD dst_unused:UNUSED_PAD src0_sel:WORD_1 src1_sel:DWORD
	v_fma_f16 v24, v48, 0x388b, -v37
	v_add_f16_e32 v11, v11, v32
	v_fmac_f16_e32 v31, 0xba95, v61
	v_pk_add_f16 v21, v22, v21
	v_add_f16_e32 v73, v83, v73
	v_fmamk_f16 v83, v53, 0xb9fd, v36
	v_mul_f16_e32 v34, 0xb3a8, v34
	v_add_f16_e32 v81, v81, v82
	v_fmamk_f16 v82, v62, 0x3b7b, v30
	v_mul_f16_e32 v28, 0xb9fd, v28
	v_add_f16_e32 v44, v44, v57
	v_fmac_f16_e32 v49, 0xba95, v66
	v_add_f16_e32 v43, v43, v47
	v_fma_f16 v47, v53, 0x2fb7, -v76
	v_add_f16_e32 v55, v55, v75
	v_fmac_f16_e32 v78, 0xb3a8, v63
	v_add_f16_e32 v23, v38, v24
	v_fma_f16 v24, v51, 0x2fb7, -v35
	v_add_f16_e32 v11, v11, v31
	v_fmac_f16_e32 v29, 0xbbf1, v63
	v_pk_add_f16 v20, v21, v20
	v_add_f16_e32 v80, v83, v80
	v_fmamk_f16 v83, v65, 0xbbc4, v34
	v_add_f16_e32 v81, v81, v82
	v_fmamk_f16 v82, v66, 0x394e, v28
	v_mul_f16_e32 v5, 0xbbc4, v5
	v_add_f16_e32 v27, v49, v44
	v_add_f16_e32 v43, v47, v43
	;; [unrolled: 1-line block ×3, first 2 shown]
	v_fma_f16 v26, v65, 0x3b15, -v68
	v_fmac_f16_e32 v77, 0x394e, v62
	v_add_f16_e32 v22, v23, v24
	v_fma_f16 v23, v54, 0xb5ac, -v33
	v_add_f16_e32 v11, v11, v29
	v_fmac_f16_e32 v30, 0xbb7b, v62
	v_pk_add_f16 v19, v20, v19
	v_add_f16_e32 v50, v83, v80
	v_add_f16_e32 v80, v82, v81
	v_fmamk_f16 v52, v70, 0x33a8, v5
	v_add_f16_e32 v25, v26, v43
	v_add_f16_e32 v26, v44, v77
	v_fmac_f16_e32 v79, 0x3bf1, v66
	v_add_f16_e32 v21, v22, v23
	v_fma_f16 v22, v53, 0xb9fd, -v36
	v_add_f16_e32 v11, v11, v30
	v_fmac_f16_e32 v28, 0xb94e, v66
	v_pk_add_f16 v12, v12, v19
	v_add_f16_e32 v52, v52, v80
	v_mul_u32_u24_e32 v19, 52, v13
	v_add_f16_e32 v26, v79, v26
	v_fmac_f16_e32 v74, 0x3770, v70
	v_fmac_f16_e32 v69, 0xb94e, v70
	v_add_f16_e32 v21, v22, v21
	v_fma_f16 v22, v65, 0xbbc4, -v34
	v_add_f16_e32 v11, v28, v11
	v_fmac_f16_e32 v5, 0xb3a8, v70
	v_pk_add_f16 v10, v10, v12
	v_add3_u32 v12, 0, v19, v17
	v_pack_b32_f16 v19, v73, v42
	v_pack_b32_f16 v23, v52, v50
	v_add_f16_e32 v20, v74, v26
	v_pack_b32_f16 v24, v40, v41
	v_bfi_b32 v26, 0xffff, v39, v6
	v_add_f16_e32 v27, v69, v27
	v_add_f16_e32 v21, v22, v21
	v_add_f16_e32 v5, v5, v11
	v_pk_add_f16 v9, v9, v10
	v_perm_b32 v10, v14, v7, 0x5040100
	ds_write2_b32 v12, v23, v19 offset0:1 offset1:2
	ds_write2_b32 v12, v24, v26 offset0:3 offset1:4
	v_perm_b32 v11, v15, v8, 0x5040100
	v_alignbit_b32 v19, v18, v15, 16
	v_perm_b32 v22, v7, v16, 0x7060302
	v_perm_b32 v23, v16, v6, 0x5040100
	v_pack_b32_f16 v20, v20, v25
	v_pack_b32_f16 v24, v27, v45
	;; [unrolled: 1-line block ×3, first 2 shown]
	ds_write2_b32 v12, v9, v10 offset1:5
	ds_write2_b32 v12, v11, v19 offset0:6 offset1:7
	ds_write2_b32 v12, v23, v22 offset0:8 offset1:9
	;; [unrolled: 1-line block ×3, first 2 shown]
	ds_write_b32 v12, v5 offset:48
.LBB0_14:
	s_or_b32 exec_lo, exec_lo, s1
	v_lshlrev_b32_e32 v5, 2, v13
	s_waitcnt lgkmcnt(0)
	s_barrier
	buffer_gl0_inv
	v_cmp_gt_u32_e64 s0, 52, v13
	v_add3_u32 v20, 0, v5, v17
	v_add3_u32 v19, 0, v17, v5
	v_lshrrev_b32_e32 v5, 16, v15
	v_lshrrev_b32_e32 v21, 16, v16
	v_add_nc_u32_e32 v23, 0x400, v20
	ds_read_b32 v22, v19
	ds_read2_b32 v[11:12], v20 offset0:117 offset1:234
	ds_read2_b32 v[9:10], v23 offset0:95 offset1:212
	s_and_saveexec_b32 s1, s0
	s_cbranch_execz .LBB0_16
; %bb.15:
	ds_read2_b32 v[7:8], v20 offset0:65 offset1:182
	ds_read2_b32 v[5:6], v23 offset0:43 offset1:160
	ds_read_b32 v21, v20 offset:2132
	s_waitcnt lgkmcnt(2)
	v_lshrrev_b32_e32 v14, 16, v7
	v_lshrrev_b32_e32 v15, 16, v8
	s_waitcnt lgkmcnt(1)
	v_lshrrev_b32_e32 v18, 16, v5
	v_lshrrev_b32_e32 v16, 16, v6
	s_waitcnt lgkmcnt(0)
	v_bfi_b32 v7, 0xffff, v7, v21
.LBB0_16:
	s_or_b32 exec_lo, exec_lo, s1
	v_and_b32_e32 v23, 0xff, v13
	s_waitcnt lgkmcnt(1)
	v_lshrrev_b32_e32 v32, 16, v11
	v_lshrrev_b32_e32 v33, 16, v12
	s_waitcnt lgkmcnt(0)
	v_lshrrev_b32_e32 v34, 16, v9
	v_lshrrev_b32_e32 v35, 16, v10
	v_mul_lo_u16 v23, 0x4f, v23
	v_lshrrev_b32_e32 v31, 16, v22
	v_lshrrev_b16 v24, 10, v23
	v_mov_b32_e32 v23, 4
	v_mul_lo_u16 v25, v24, 13
	v_and_b32_e32 v30, 0xffff, v24
	v_mov_b32_e32 v24, 2
	v_sub_nc_u16 v29, v13, v25
	v_mad_u32_u24 v30, 0x104, v30, 0
	v_lshlrev_b32_sdwa v25, v23, v29 dst_sel:DWORD dst_unused:UNUSED_PAD src0_sel:DWORD src1_sel:BYTE_0
	v_lshlrev_b32_sdwa v29, v24, v29 dst_sel:DWORD dst_unused:UNUSED_PAD src0_sel:DWORD src1_sel:BYTE_0
	global_load_dwordx4 v[25:28], v25, s[12:13]
	v_add3_u32 v29, v30, v29, v17
	s_waitcnt vmcnt(0)
	s_barrier
	buffer_gl0_inv
	v_mul_f16_sdwa v30, v25, v32 dst_sel:DWORD dst_unused:UNUSED_PAD src0_sel:WORD_1 src1_sel:DWORD
	v_mul_f16_sdwa v37, v26, v33 dst_sel:DWORD dst_unused:UNUSED_PAD src0_sel:WORD_1 src1_sel:DWORD
	;; [unrolled: 1-line block ×8, first 2 shown]
	v_fma_f16 v11, v25, v11, -v30
	v_fma_f16 v12, v26, v12, -v37
	v_fmac_f16_e32 v38, v26, v33
	v_fma_f16 v9, v27, v9, -v39
	v_fmac_f16_e32 v40, v27, v34
	;; [unrolled: 2-line block ×3, first 2 shown]
	v_fmac_f16_e32 v42, v28, v35
	v_add_f16_e32 v25, v22, v11
	v_add_f16_e32 v26, v12, v9
	;; [unrolled: 1-line block ×5, first 2 shown]
	v_sub_f16_e32 v27, v36, v42
	v_sub_f16_e32 v30, v11, v12
	;; [unrolled: 1-line block ×4, first 2 shown]
	v_add_f16_e32 v37, v31, v36
	v_sub_f16_e32 v11, v11, v10
	v_sub_f16_e32 v41, v12, v9
	v_add_f16_e32 v12, v25, v12
	v_fma_f16 v25, -0.5, v26, v22
	v_fmac_f16_e32 v22, -0.5, v33
	v_fma_f16 v33, -0.5, v39, v31
	v_sub_f16_e32 v28, v38, v40
	v_sub_f16_e32 v35, v9, v10
	;; [unrolled: 1-line block ×5, first 2 shown]
	v_fmac_f16_e32 v31, -0.5, v45
	v_sub_f16_e32 v44, v42, v40
	v_add_f16_e32 v26, v30, v32
	v_add_f16_e32 v32, v37, v38
	;; [unrolled: 1-line block ×3, first 2 shown]
	v_fmamk_f16 v12, v27, 0x3b9c, v25
	v_fmamk_f16 v37, v11, 0xbb9c, v33
	v_add_f16_e32 v30, v34, v35
	v_add_f16_e32 v35, v36, v46
	v_fmamk_f16 v36, v28, 0xbb9c, v22
	v_fmac_f16_e32 v22, 0x3b9c, v28
	v_fmamk_f16 v38, v41, 0x3b9c, v31
	v_fmac_f16_e32 v31, 0xbb9c, v41
	v_fmac_f16_e32 v25, 0xbb9c, v27
	;; [unrolled: 1-line block ×3, first 2 shown]
	v_add_f16_e32 v34, v43, v44
	v_add_f16_e32 v32, v32, v40
	v_fmac_f16_e32 v12, 0x38b4, v28
	v_fmac_f16_e32 v37, 0xb8b4, v41
	;; [unrolled: 1-line block ×8, first 2 shown]
	v_add_f16_e32 v9, v9, v10
	v_add_f16_e32 v10, v32, v42
	v_fmac_f16_e32 v12, 0x34f2, v26
	v_fmac_f16_e32 v37, 0x34f2, v34
	;; [unrolled: 1-line block ×8, first 2 shown]
	v_pack_b32_f16 v9, v9, v10
	v_pack_b32_f16 v10, v12, v37
	v_pack_b32_f16 v11, v36, v38
	v_pack_b32_f16 v12, v22, v31
	v_pack_b32_f16 v22, v25, v33
	ds_write2_b32 v29, v9, v10 offset1:13
	ds_write2_b32 v29, v11, v12 offset0:26 offset1:39
	ds_write_b32 v29, v22 offset:208
	s_and_saveexec_b32 s1, s0
	s_cbranch_execz .LBB0_18
; %bb.17:
	v_add_nc_u16 v9, v13, 0x41
	v_and_b32_e32 v10, 0xff, v9
	v_mul_lo_u16 v10, 0x4f, v10
	v_lshrrev_b16 v22, 10, v10
	v_mul_lo_u16 v10, v22, 13
	v_and_b32_e32 v22, 0xffff, v22
	v_sub_nc_u16 v25, v9, v10
	v_mad_u32_u24 v22, 0x104, v22, 0
	v_lshlrev_b32_sdwa v9, v23, v25 dst_sel:DWORD dst_unused:UNUSED_PAD src0_sel:DWORD src1_sel:BYTE_0
	v_lshlrev_b32_sdwa v23, v24, v25 dst_sel:DWORD dst_unused:UNUSED_PAD src0_sel:DWORD src1_sel:BYTE_0
	v_lshrrev_b32_e32 v24, 16, v7
	global_load_dwordx4 v[9:12], v9, s[12:13]
	v_add3_u32 v17, v22, v23, v17
	s_waitcnt vmcnt(0)
	v_mul_f16_sdwa v22, v5, v10 dst_sel:DWORD dst_unused:UNUSED_PAD src0_sel:DWORD src1_sel:WORD_1
	v_mul_f16_sdwa v23, v8, v9 dst_sel:DWORD dst_unused:UNUSED_PAD src0_sel:DWORD src1_sel:WORD_1
	;; [unrolled: 1-line block ×8, first 2 shown]
	v_fmac_f16_e32 v22, v18, v10
	v_fmac_f16_e32 v23, v15, v9
	v_fmac_f16_e32 v25, v16, v11
	v_fmac_f16_e32 v26, v24, v12
	v_fma_f16 v8, v8, v9, -v27
	v_fma_f16 v9, v21, v12, -v28
	;; [unrolled: 1-line block ×4, first 2 shown]
	v_sub_f16_e32 v10, v22, v23
	v_sub_f16_e32 v11, v25, v26
	v_add_f16_e32 v15, v23, v26
	v_sub_f16_e32 v18, v5, v8
	v_sub_f16_e32 v21, v6, v9
	v_add_f16_e32 v24, v8, v9
	v_add_f16_e32 v31, v22, v25
	;; [unrolled: 1-line block ×3, first 2 shown]
	v_sub_f16_e32 v12, v8, v9
	v_sub_f16_e32 v28, v23, v26
	;; [unrolled: 1-line block ×5, first 2 shown]
	v_add_f16_e32 v23, v14, v23
	v_add_f16_e32 v8, v7, v8
	;; [unrolled: 1-line block ×3, first 2 shown]
	v_fma_f16 v11, -0.5, v15, v14
	v_add_f16_e32 v15, v18, v21
	v_fma_f16 v18, -0.5, v24, v7
	v_fma_f16 v14, -0.5, v31, v14
	;; [unrolled: 1-line block ×3, first 2 shown]
	v_sub_f16_e32 v16, v5, v6
	v_sub_f16_e32 v27, v22, v25
	;; [unrolled: 1-line block ×3, first 2 shown]
	v_add_f16_e32 v21, v29, v30
	v_add_f16_e32 v22, v23, v22
	;; [unrolled: 1-line block ×3, first 2 shown]
	v_fmamk_f16 v29, v12, 0xbb9c, v14
	v_fmamk_f16 v30, v28, 0x3b9c, v7
	;; [unrolled: 1-line block ×4, first 2 shown]
	v_fmac_f16_e32 v11, 0x3b9c, v16
	v_fmac_f16_e32 v18, 0xbb9c, v27
	;; [unrolled: 1-line block ×4, first 2 shown]
	v_add_f16_e32 v24, v32, v33
	v_add_f16_e32 v22, v22, v25
	;; [unrolled: 1-line block ×3, first 2 shown]
	v_fmac_f16_e32 v29, 0xb8b4, v16
	v_fmac_f16_e32 v30, 0x38b4, v27
	;; [unrolled: 1-line block ×8, first 2 shown]
	v_add_f16_e32 v6, v22, v26
	v_add_f16_e32 v5, v5, v9
	v_fmac_f16_e32 v29, 0x34f2, v21
	v_fmac_f16_e32 v30, 0x34f2, v24
	v_fmac_f16_e32 v8, 0x34f2, v10
	v_fmac_f16_e32 v23, 0x34f2, v15
	v_fmac_f16_e32 v11, 0x34f2, v10
	v_fmac_f16_e32 v18, 0x34f2, v15
	v_fmac_f16_e32 v14, 0x34f2, v21
	v_fmac_f16_e32 v7, 0x34f2, v24
	v_pack_b32_f16 v5, v5, v6
	v_pack_b32_f16 v6, v30, v29
	;; [unrolled: 1-line block ×5, first 2 shown]
	ds_write2_b32 v17, v5, v6 offset1:13
	ds_write2_b32 v17, v9, v8 offset0:26 offset1:39
	ds_write_b32 v17, v7 offset:208
.LBB0_18:
	s_or_b32 exec_lo, exec_lo, s1
	s_waitcnt lgkmcnt(0)
	s_barrier
	buffer_gl0_inv
	s_and_saveexec_b32 s0, vcc_lo
	s_cbranch_execz .LBB0_20
; %bb.19:
	v_lshlrev_b32_e32 v5, 3, v13
	v_mov_b32_e32 v6, 0
	v_add_nc_u32_e32 v17, 0x600, v20
	v_add_nc_u32_e32 v21, 0x200, v20
	;; [unrolled: 1-line block ×4, first 2 shown]
	v_lshlrev_b64 v[5:6], 2, v[5:6]
	v_add_nc_u32_e32 v42, 0x82, v0
	v_mul_lo_u32 v37, s5, v3
	v_mul_lo_u32 v38, s4, v4
	v_mad_u64_u32 v[3:4], null, s4, v3, 0
	v_add_co_u32 v9, vcc_lo, s12, v5
	v_add_co_ci_u32_e32 v10, vcc_lo, s13, v6, vcc_lo
	v_mad_u64_u32 v[15:16], null, s2, v0, 0
	s_clause 0x1
	global_load_dwordx4 v[5:8], v[9:10], off offset:208
	global_load_dwordx4 v[9:12], v[9:10], off offset:224
	ds_read2_b32 v[13:14], v20 offset0:65 offset1:130
	ds_read_b32 v49, v19
	ds_read2_b32 v[17:18], v17 offset0:71 offset1:136
	ds_read2_b32 v[19:20], v21 offset0:67 offset1:132
	;; [unrolled: 1-line block ×3, first 2 shown]
	v_mad_u64_u32 v[23:24], null, s2, v41, 0
	v_add_nc_u32_e32 v43, 0xc3, v0
	v_add_nc_u32_e32 v44, 0x104, v0
	v_mad_u64_u32 v[25:26], null, s2, v42, 0
	v_add_nc_u32_e32 v45, 0x145, v0
	v_add_nc_u32_e32 v46, 0x186, v0
	;; [unrolled: 1-line block ×3, first 2 shown]
	v_mad_u64_u32 v[27:28], null, s2, v43, 0
	v_lshlrev_b64 v[1:2], 2, v[1:2]
	v_add_nc_u32_e32 v48, 0x208, v0
	v_add3_u32 v4, v4, v38, v37
	v_mad_u64_u32 v[29:30], null, s2, v44, 0
	v_mad_u64_u32 v[31:32], null, s2, v45, 0
	s_waitcnt lgkmcnt(2)
	v_mad_u64_u32 v[39:40], null, s3, v0, v[16:17]
	v_mov_b32_e32 v0, v24
	v_mad_u64_u32 v[33:34], null, s2, v46, 0
	v_mad_u64_u32 v[35:36], null, s2, v47, 0
	v_mov_b32_e32 v16, v26
	v_mad_u64_u32 v[37:38], null, s2, v48, 0
	v_lshlrev_b64 v[3:4], 2, v[3:4]
	v_mad_u64_u32 v[40:41], null, s3, v41, v[0:1]
	v_mov_b32_e32 v24, v28
	v_mov_b32_e32 v26, v30
	v_mad_u64_u32 v[41:42], null, s3, v42, v[16:17]
	v_mov_b32_e32 v28, v32
	v_mov_b32_e32 v30, v34
	v_add_co_u32 v0, vcc_lo, s10, v3
	v_mov_b32_e32 v16, v39
	v_mov_b32_e32 v32, v36
	v_mad_u64_u32 v[42:43], null, s3, v43, v[24:25]
	v_mov_b32_e32 v34, v38
	v_mad_u64_u32 v[43:44], null, s3, v44, v[26:27]
	v_add_co_ci_u32_e32 v3, vcc_lo, s11, v4, vcc_lo
	v_mov_b32_e32 v24, v40
	v_mad_u64_u32 v[44:45], null, s3, v45, v[28:29]
	v_mad_u64_u32 v[45:46], null, s3, v46, v[30:31]
	v_add_co_u32 v39, vcc_lo, v0, v1
	v_lshlrev_b64 v[0:1], 2, v[15:16]
	v_mad_u64_u32 v[46:47], null, s3, v47, v[32:33]
	v_mov_b32_e32 v26, v41
	v_mad_u64_u32 v[47:48], null, s3, v48, v[34:35]
	v_add_co_ci_u32_e32 v48, vcc_lo, v3, v2, vcc_lo
	v_lshlrev_b64 v[2:3], 2, v[23:24]
	v_mov_b32_e32 v28, v42
	v_lshlrev_b64 v[15:16], 2, v[25:26]
	v_add_co_u32 v0, vcc_lo, v39, v0
	v_mov_b32_e32 v30, v43
	v_add_co_ci_u32_e32 v1, vcc_lo, v48, v1, vcc_lo
	v_lshlrev_b64 v[23:24], 2, v[27:28]
	v_add_co_u32 v2, vcc_lo, v39, v2
	v_mov_b32_e32 v32, v44
	v_add_co_ci_u32_e32 v3, vcc_lo, v48, v3, vcc_lo
	;; [unrolled: 4-line block ×5, first 2 shown]
	v_lshlrev_b64 v[31:32], 2, v[35:36]
	v_add_co_u32 v27, vcc_lo, v39, v27
	v_add_co_ci_u32_e32 v28, vcc_lo, v48, v28, vcc_lo
	v_lshlrev_b64 v[33:34], 2, v[37:38]
	v_add_co_u32 v29, vcc_lo, v39, v29
	v_add_co_ci_u32_e32 v30, vcc_lo, v48, v30, vcc_lo
	v_add_co_u32 v31, vcc_lo, v39, v31
	v_add_co_ci_u32_e32 v32, vcc_lo, v48, v32, vcc_lo
	v_add_co_u32 v33, vcc_lo, v39, v33
	v_add_co_ci_u32_e32 v34, vcc_lo, v48, v34, vcc_lo
	v_lshrrev_b32_e32 v4, 16, v49
	s_waitcnt vmcnt(1)
	v_lshrrev_b32_e32 v35, 16, v5
	v_lshrrev_b32_e32 v36, 16, v6
	v_mul_f16_sdwa v39, v5, v13 dst_sel:DWORD dst_unused:UNUSED_PAD src0_sel:DWORD src1_sel:WORD_1
	s_waitcnt vmcnt(0)
	v_lshrrev_b32_e32 v42, 16, v11
	v_lshrrev_b32_e32 v43, 16, v12
	v_mul_f16_sdwa v44, v12, v18 dst_sel:DWORD dst_unused:UNUSED_PAD src0_sel:DWORD src1_sel:WORD_1
	v_mul_f16_sdwa v47, v6, v14 dst_sel:DWORD dst_unused:UNUSED_PAD src0_sel:DWORD src1_sel:WORD_1
	;; [unrolled: 1-line block ×3, first 2 shown]
	v_lshrrev_b32_e32 v37, 16, v7
	v_lshrrev_b32_e32 v38, 16, v8
	;; [unrolled: 1-line block ×4, first 2 shown]
	s_waitcnt lgkmcnt(1)
	v_mul_f16_sdwa v45, v7, v19 dst_sel:DWORD dst_unused:UNUSED_PAD src0_sel:DWORD src1_sel:WORD_1
	s_waitcnt lgkmcnt(0)
	v_mul_f16_sdwa v46, v10, v22 dst_sel:DWORD dst_unused:UNUSED_PAD src0_sel:DWORD src1_sel:WORD_1
	v_mul_f16_sdwa v50, v8, v20 dst_sel:DWORD dst_unused:UNUSED_PAD src0_sel:DWORD src1_sel:WORD_1
	;; [unrolled: 1-line block ×3, first 2 shown]
	v_fmac_f16_e32 v39, v35, v13
	v_fmac_f16_e32 v44, v43, v18
	;; [unrolled: 1-line block ×4, first 2 shown]
	v_mul_f16_sdwa v42, v42, v17 dst_sel:DWORD dst_unused:UNUSED_PAD src0_sel:DWORD src1_sel:WORD_1
	v_mul_f16_sdwa v36, v36, v14 dst_sel:DWORD dst_unused:UNUSED_PAD src0_sel:DWORD src1_sel:WORD_1
	v_mul_f16_sdwa v43, v43, v18 dst_sel:DWORD dst_unused:UNUSED_PAD src0_sel:DWORD src1_sel:WORD_1
	v_mul_f16_sdwa v35, v35, v13 dst_sel:DWORD dst_unused:UNUSED_PAD src0_sel:DWORD src1_sel:WORD_1
	v_fmac_f16_e32 v45, v37, v19
	v_fmac_f16_e32 v46, v41, v22
	;; [unrolled: 1-line block ×4, first 2 shown]
	v_mul_f16_sdwa v40, v40, v21 dst_sel:DWORD dst_unused:UNUSED_PAD src0_sel:DWORD src1_sel:WORD_1
	v_mul_f16_sdwa v38, v38, v20 dst_sel:DWORD dst_unused:UNUSED_PAD src0_sel:DWORD src1_sel:WORD_1
	;; [unrolled: 1-line block ×4, first 2 shown]
	v_fma_f16 v11, v17, v11, -v42
	v_fma_f16 v6, v6, v14, -v36
	v_fma_f16 v12, v18, v12, -v43
	v_fma_f16 v5, v5, v13, -v35
	v_add_f16_e32 v14, v47, v48
	v_add_f16_e32 v18, v39, v44
	v_fma_f16 v9, v9, v21, -v40
	v_fma_f16 v8, v8, v20, -v38
	;; [unrolled: 1-line block ×4, first 2 shown]
	v_add_f16_e32 v17, v45, v46
	v_add_f16_e32 v21, v6, v11
	;; [unrolled: 1-line block ×3, first 2 shown]
	v_sub_f16_e32 v5, v5, v12
	v_add_f16_e32 v12, v18, v14
	v_sub_f16_e32 v52, v39, v44
	v_add_f16_e32 v22, v7, v10
	v_sub_f16_e32 v7, v7, v10
	v_sub_f16_e32 v6, v6, v11
	;; [unrolled: 1-line block ×3, first 2 shown]
	v_add_f16_e32 v43, v17, v12
	v_add_f16_e32 v44, v35, v21
	v_sub_f16_e32 v54, v47, v48
	v_sub_f16_e32 v55, v50, v51
	v_add_f16_e32 v13, v50, v51
	v_mul_f16_e32 v42, 0x3be1, v10
	v_mul_f16_e32 v48, 0xb924, v10
	;; [unrolled: 1-line block ×3, first 2 shown]
	v_add_f16_e32 v43, v43, v50
	v_add_f16_e32 v50, v22, v44
	;; [unrolled: 1-line block ×3, first 2 shown]
	v_fma_f16 v42, v6, 0xb924, -v42
	v_fmac_f16_e32 v48, 0x3be1, v5
	v_fmac_f16_e32 v56, 0x3924, v5
	v_add_f16_e32 v8, v50, v8
	v_sub_f16_e32 v53, v45, v46
	v_add_f16_e32 v37, v17, v4
	v_add_f16_e32 v12, v12, v13
	;; [unrolled: 1-line block ×3, first 2 shown]
	v_fmac_f16_e32 v42, 0x3aee, v7
	v_add_f16_e32 v43, v43, v51
	v_fmac_f16_e32 v48, 0xbaee, v7
	v_fmac_f16_e32 v56, 0x3aee, v7
	v_add_f16_e32 v7, v8, v9
	v_mul_f16_e32 v19, 0x3be1, v55
	v_fmamk_f16 v11, v14, 0x3a21, v4
	v_fmamk_f16 v41, v21, 0x3a21, v49
	v_mul_f16_e32 v38, 0xb924, v55
	v_fmamk_f16 v39, v13, 0x3a21, v4
	v_fmamk_f16 v47, v20, 0x3a21, v49
	v_mul_f16_e32 v40, 0x3be1, v54
	v_add_f16_e32 v45, v22, v49
	v_fmac_f16_e32 v37, -0.5, v12
	v_sub_f16_e32 v12, v46, v6
	v_fmac_f16_e32 v42, 0x3579, v5
	v_add_f16_e32 v5, v4, v43
	v_fmac_f16_e32 v48, 0x3579, v6
	v_fmac_f16_e32 v4, 0x3a21, v18
	v_add_f16_e32 v6, v49, v7
	v_fmac_f16_e32 v49, 0x3a21, v35
	v_fma_f16 v19, v54, 0xb924, -v19
	v_fmac_f16_e32 v11, 0x318f, v13
	v_fmac_f16_e32 v41, 0x318f, v20
	;; [unrolled: 1-line block ×9, first 2 shown]
	v_fmac_f16_e32 v11, -0.5, v17
	v_fmac_f16_e32 v41, -0.5, v22
	v_add_f16_e32 v36, v52, v55
	v_add_f16_e32 v44, v44, v20
	v_fmac_f16_e32 v38, 0xbaee, v53
	v_fmac_f16_e32 v39, -0.5, v17
	v_fmac_f16_e32 v47, -0.5, v22
	v_fmac_f16_e32 v40, 0x3aee, v53
	v_fmac_f16_e32 v4, -0.5, v17
	v_fmac_f16_e32 v49, -0.5, v22
	v_fmac_f16_e32 v19, 0x3579, v52
	v_fmac_f16_e32 v11, 0xbb84, v18
	v_fmac_f16_e32 v41, 0xbb84, v35
	v_sub_f16_e32 v36, v36, v54
	v_fmac_f16_e32 v45, -0.5, v44
	v_fmac_f16_e32 v38, 0x3579, v54
	v_fmac_f16_e32 v39, 0xbb84, v14
	v_fmac_f16_e32 v47, 0xbb84, v21
	v_fmac_f16_e32 v40, 0x3579, v55
	v_fmac_f16_e32 v56, 0x3579, v10
	v_fmac_f16_e32 v4, 0xbb84, v13
	v_fmac_f16_e32 v49, 0xbb84, v20
	v_add_f16_e32 v7, v19, v41
	v_sub_f16_e32 v9, v11, v42
	v_mul_f16_e32 v57, 0x3aee, v36
	v_mul_f16_e32 v44, 0x3aee, v12
	v_fmac_f16_e32 v37, 0xbaee, v12
	v_fmac_f16_e32 v45, 0x3aee, v36
	v_add_f16_e32 v11, v38, v47
	v_sub_f16_e32 v12, v39, v48
	v_pack_b32_f16 v5, v6, v5
	v_sub_f16_e32 v4, v4, v56
	v_add_f16_e32 v6, v40, v49
	v_fma_f16 v17, -2.0, v19, v7
	v_fma_f16 v18, 2.0, v42, v9
	v_fma_f16 v8, 2.0, v44, v37
	v_fma_f16 v10, -2.0, v57, v45
	v_fma_f16 v13, -2.0, v38, v11
	v_fma_f16 v19, 2.0, v48, v12
	global_store_dword v[0:1], v5, off
	v_pack_b32_f16 v0, v6, v4
	v_fma_f16 v4, 2.0, v56, v4
	v_fma_f16 v5, -2.0, v40, v6
	v_pack_b32_f16 v11, v11, v12
	v_pack_b32_f16 v7, v7, v9
	;; [unrolled: 1-line block ×6, first 2 shown]
	global_store_dword v[2:3], v0, off
	global_store_dword v[15:16], v11, off
	;; [unrolled: 1-line block ×3, first 2 shown]
	v_pack_b32_f16 v0, v5, v4
	global_store_dword v[25:26], v7, off
	global_store_dword v[27:28], v1, off
	;; [unrolled: 1-line block ×5, first 2 shown]
.LBB0_20:
	s_endpgm
	.section	.rodata,"a",@progbits
	.p2align	6, 0x0
	.amdhsa_kernel fft_rtc_fwd_len585_factors_13_5_9_wgs_195_tpt_65_half_op_CI_CI_sbrr_dirReg
		.amdhsa_group_segment_fixed_size 0
		.amdhsa_private_segment_fixed_size 0
		.amdhsa_kernarg_size 104
		.amdhsa_user_sgpr_count 6
		.amdhsa_user_sgpr_private_segment_buffer 1
		.amdhsa_user_sgpr_dispatch_ptr 0
		.amdhsa_user_sgpr_queue_ptr 0
		.amdhsa_user_sgpr_kernarg_segment_ptr 1
		.amdhsa_user_sgpr_dispatch_id 0
		.amdhsa_user_sgpr_flat_scratch_init 0
		.amdhsa_user_sgpr_private_segment_size 0
		.amdhsa_wavefront_size32 1
		.amdhsa_uses_dynamic_stack 0
		.amdhsa_system_sgpr_private_segment_wavefront_offset 0
		.amdhsa_system_sgpr_workgroup_id_x 1
		.amdhsa_system_sgpr_workgroup_id_y 0
		.amdhsa_system_sgpr_workgroup_id_z 0
		.amdhsa_system_sgpr_workgroup_info 0
		.amdhsa_system_vgpr_workitem_id 0
		.amdhsa_next_free_vgpr 85
		.amdhsa_next_free_sgpr 31
		.amdhsa_reserve_vcc 1
		.amdhsa_reserve_flat_scratch 0
		.amdhsa_float_round_mode_32 0
		.amdhsa_float_round_mode_16_64 0
		.amdhsa_float_denorm_mode_32 3
		.amdhsa_float_denorm_mode_16_64 3
		.amdhsa_dx10_clamp 1
		.amdhsa_ieee_mode 1
		.amdhsa_fp16_overflow 0
		.amdhsa_workgroup_processor_mode 1
		.amdhsa_memory_ordered 1
		.amdhsa_forward_progress 0
		.amdhsa_shared_vgpr_count 0
		.amdhsa_exception_fp_ieee_invalid_op 0
		.amdhsa_exception_fp_denorm_src 0
		.amdhsa_exception_fp_ieee_div_zero 0
		.amdhsa_exception_fp_ieee_overflow 0
		.amdhsa_exception_fp_ieee_underflow 0
		.amdhsa_exception_fp_ieee_inexact 0
		.amdhsa_exception_int_div_zero 0
	.end_amdhsa_kernel
	.text
.Lfunc_end0:
	.size	fft_rtc_fwd_len585_factors_13_5_9_wgs_195_tpt_65_half_op_CI_CI_sbrr_dirReg, .Lfunc_end0-fft_rtc_fwd_len585_factors_13_5_9_wgs_195_tpt_65_half_op_CI_CI_sbrr_dirReg
                                        ; -- End function
	.section	.AMDGPU.csdata,"",@progbits
; Kernel info:
; codeLenInByte = 8128
; NumSgprs: 33
; NumVgprs: 85
; ScratchSize: 0
; MemoryBound: 0
; FloatMode: 240
; IeeeMode: 1
; LDSByteSize: 0 bytes/workgroup (compile time only)
; SGPRBlocks: 4
; VGPRBlocks: 10
; NumSGPRsForWavesPerEU: 33
; NumVGPRsForWavesPerEU: 85
; Occupancy: 10
; WaveLimiterHint : 1
; COMPUTE_PGM_RSRC2:SCRATCH_EN: 0
; COMPUTE_PGM_RSRC2:USER_SGPR: 6
; COMPUTE_PGM_RSRC2:TRAP_HANDLER: 0
; COMPUTE_PGM_RSRC2:TGID_X_EN: 1
; COMPUTE_PGM_RSRC2:TGID_Y_EN: 0
; COMPUTE_PGM_RSRC2:TGID_Z_EN: 0
; COMPUTE_PGM_RSRC2:TIDIG_COMP_CNT: 0
	.text
	.p2alignl 6, 3214868480
	.fill 48, 4, 3214868480
	.type	__hip_cuid_d0535043ec817d9e,@object ; @__hip_cuid_d0535043ec817d9e
	.section	.bss,"aw",@nobits
	.globl	__hip_cuid_d0535043ec817d9e
__hip_cuid_d0535043ec817d9e:
	.byte	0                               ; 0x0
	.size	__hip_cuid_d0535043ec817d9e, 1

	.ident	"AMD clang version 19.0.0git (https://github.com/RadeonOpenCompute/llvm-project roc-6.4.0 25133 c7fe45cf4b819c5991fe208aaa96edf142730f1d)"
	.section	".note.GNU-stack","",@progbits
	.addrsig
	.addrsig_sym __hip_cuid_d0535043ec817d9e
	.amdgpu_metadata
---
amdhsa.kernels:
  - .args:
      - .actual_access:  read_only
        .address_space:  global
        .offset:         0
        .size:           8
        .value_kind:     global_buffer
      - .offset:         8
        .size:           8
        .value_kind:     by_value
      - .actual_access:  read_only
        .address_space:  global
        .offset:         16
        .size:           8
        .value_kind:     global_buffer
      - .actual_access:  read_only
        .address_space:  global
        .offset:         24
        .size:           8
        .value_kind:     global_buffer
      - .actual_access:  read_only
        .address_space:  global
        .offset:         32
        .size:           8
        .value_kind:     global_buffer
      - .offset:         40
        .size:           8
        .value_kind:     by_value
      - .actual_access:  read_only
        .address_space:  global
        .offset:         48
        .size:           8
        .value_kind:     global_buffer
      - .actual_access:  read_only
        .address_space:  global
        .offset:         56
        .size:           8
        .value_kind:     global_buffer
      - .offset:         64
        .size:           4
        .value_kind:     by_value
      - .actual_access:  read_only
        .address_space:  global
        .offset:         72
        .size:           8
        .value_kind:     global_buffer
      - .actual_access:  read_only
        .address_space:  global
        .offset:         80
        .size:           8
        .value_kind:     global_buffer
      - .actual_access:  read_only
        .address_space:  global
        .offset:         88
        .size:           8
        .value_kind:     global_buffer
      - .actual_access:  write_only
        .address_space:  global
        .offset:         96
        .size:           8
        .value_kind:     global_buffer
    .group_segment_fixed_size: 0
    .kernarg_segment_align: 8
    .kernarg_segment_size: 104
    .language:       OpenCL C
    .language_version:
      - 2
      - 0
    .max_flat_workgroup_size: 195
    .name:           fft_rtc_fwd_len585_factors_13_5_9_wgs_195_tpt_65_half_op_CI_CI_sbrr_dirReg
    .private_segment_fixed_size: 0
    .sgpr_count:     33
    .sgpr_spill_count: 0
    .symbol:         fft_rtc_fwd_len585_factors_13_5_9_wgs_195_tpt_65_half_op_CI_CI_sbrr_dirReg.kd
    .uniform_work_group_size: 1
    .uses_dynamic_stack: false
    .vgpr_count:     85
    .vgpr_spill_count: 0
    .wavefront_size: 32
    .workgroup_processor_mode: 1
amdhsa.target:   amdgcn-amd-amdhsa--gfx1030
amdhsa.version:
  - 1
  - 2
...

	.end_amdgpu_metadata
